;; amdgpu-corpus repo=ROCm/rocFFT kind=compiled arch=gfx1201 opt=O3
	.text
	.amdgcn_target "amdgcn-amd-amdhsa--gfx1201"
	.amdhsa_code_object_version 6
	.protected	fft_rtc_fwd_len192_factors_8_6_4_wgs_480_tpt_48_half_op_CI_CI_sbcc_twdbase5_3step_dirReg ; -- Begin function fft_rtc_fwd_len192_factors_8_6_4_wgs_480_tpt_48_half_op_CI_CI_sbcc_twdbase5_3step_dirReg
	.globl	fft_rtc_fwd_len192_factors_8_6_4_wgs_480_tpt_48_half_op_CI_CI_sbcc_twdbase5_3step_dirReg
	.p2align	8
	.type	fft_rtc_fwd_len192_factors_8_6_4_wgs_480_tpt_48_half_op_CI_CI_sbcc_twdbase5_3step_dirReg,@function
fft_rtc_fwd_len192_factors_8_6_4_wgs_480_tpt_48_half_op_CI_CI_sbcc_twdbase5_3step_dirReg: ; @fft_rtc_fwd_len192_factors_8_6_4_wgs_480_tpt_48_half_op_CI_CI_sbcc_twdbase5_3step_dirReg
; %bb.0:
	s_clause 0x1
	s_load_b256 s[4:11], s[0:1], 0x8
	s_load_b64 s[2:3], s[0:1], 0x28
	s_mov_b32 s16, ttmp9
	s_mov_b32 s12, exec_lo
	v_cmpx_gt_u32_e32 0x60, v0
	s_cbranch_execz .LBB0_2
; %bb.1:
	v_lshlrev_b32_e32 v1, 2, v0
	s_wait_kmcnt 0x0
	global_load_b32 v2, v1, s[4:5]
	v_add_nc_u32_e32 v1, 0, v1
	s_wait_loadcnt 0x0
	ds_store_b32 v1, v2 offset:7680
.LBB0_2:
	s_or_b32 exec_lo, exec_lo, s12
	s_mov_b32 s17, 0
	s_wait_kmcnt 0x0
	s_mov_b32 s4, 0x99986000
	s_movk_i32 s5, 0x59
	s_mov_b32 s12, s17
	s_mov_b32 s13, s17
	s_load_b64 s[28:29], s[8:9], 0x8
	s_add_nc_u64 s[4:5], s[12:13], s[4:5]
	s_mov_b32 s19, s17
	s_add_co_i32 s5, s5, 0x19999940
	s_mov_b64 s[24:25], 0
	s_mul_u64 s[12:13], s[4:5], -10
	s_delay_alu instid0(SALU_CYCLE_1)
	s_mul_hi_u32 s15, s4, s13
	s_mul_i32 s14, s4, s13
	s_mul_hi_u32 s18, s4, s12
	s_mul_hi_u32 s20, s5, s12
	s_mul_i32 s12, s5, s12
	s_add_nc_u64 s[14:15], s[18:19], s[14:15]
	s_mul_hi_u32 s18, s5, s13
	s_add_co_u32 s12, s14, s12
	s_add_co_ci_u32 s12, s15, s20
	s_add_co_ci_u32 s15, s18, 0
	s_mul_i32 s14, s5, s13
	s_mov_b32 s13, s17
	s_delay_alu instid0(SALU_CYCLE_1) | instskip(SKIP_3) | instid1(VALU_DEP_1)
	s_add_nc_u64 s[12:13], s[12:13], s[14:15]
	s_wait_kmcnt 0x0
	s_add_nc_u64 s[14:15], s[28:29], -1
	v_add_co_u32 v1, s4, s4, s12
	s_cmp_lg_u32 s4, 0
	s_add_co_ci_u32 s19, s5, s13
	s_delay_alu instid0(VALU_DEP_1) | instskip(SKIP_3) | instid1(VALU_DEP_1)
	v_readfirstlane_b32 s18, v1
	s_mul_hi_u32 s5, s14, s19
	s_mul_i32 s4, s14, s19
	s_mov_b32 s13, s17
	s_mul_hi_u32 s12, s14, s18
	s_wait_alu 0xfffe
	s_add_nc_u64 s[4:5], s[12:13], s[4:5]
	s_mul_i32 s13, s15, s18
	s_mul_hi_u32 s18, s15, s18
	s_mul_hi_u32 s12, s15, s19
	s_wait_alu 0xfffe
	s_add_co_u32 s4, s4, s13
	s_add_co_ci_u32 s4, s5, s18
	s_add_co_ci_u32 s13, s12, 0
	s_mul_i32 s12, s15, s19
	s_mov_b32 s5, s17
	s_wait_alu 0xfffe
	s_add_nc_u64 s[4:5], s[4:5], s[12:13]
	s_wait_alu 0xfffe
	s_mul_u64 s[12:13], s[4:5], 10
	s_wait_alu 0xfffe
	v_sub_co_u32 v1, s12, s14, s12
	s_delay_alu instid0(VALU_DEP_1) | instskip(SKIP_1) | instid1(VALU_DEP_1)
	s_cmp_lg_u32 s12, 0
	s_sub_co_ci_u32 s18, s15, s13
	v_sub_co_u32 v2, s14, v1, 10
	s_delay_alu instid0(VALU_DEP_1) | instskip(SKIP_2) | instid1(VALU_DEP_2)
	s_cmp_lg_u32 s14, 0
	v_readfirstlane_b32 s20, v1
	s_sub_co_ci_u32 s14, s18, 0
	v_readfirstlane_b32 s12, v2
	s_delay_alu instid0(VALU_DEP_1)
	s_cmp_gt_u32 s12, 9
	s_add_nc_u64 s[12:13], s[4:5], 1
	s_cselect_b32 s19, -1, 0
	s_wait_alu 0xfffe
	s_cmp_eq_u32 s14, 0
	s_add_nc_u64 s[14:15], s[4:5], 2
	s_cselect_b32 s19, s19, -1
	s_delay_alu instid0(SALU_CYCLE_1)
	s_cmp_lg_u32 s19, 0
	s_wait_alu 0xfffe
	s_cselect_b32 s12, s14, s12
	s_cselect_b32 s13, s15, s13
	s_cmp_gt_u32 s20, 9
	s_cselect_b32 s14, -1, 0
	s_cmp_eq_u32 s18, 0
	s_wait_alu 0xfffe
	s_cselect_b32 s14, s14, -1
	s_wait_alu 0xfffe
	s_cmp_lg_u32 s14, 0
	s_cselect_b32 s5, s13, s5
	s_cselect_b32 s4, s12, s4
	s_wait_alu 0xfffe
	s_add_nc_u64 s[18:19], s[4:5], 1
	s_delay_alu instid0(SALU_CYCLE_1) | instskip(NEXT) | instid1(VALU_DEP_1)
	v_cmp_lt_u64_e64 s4, s[16:17], s[18:19]
	s_and_b32 vcc_lo, exec_lo, s4
	s_cbranch_vccnz .LBB0_4
; %bb.3:
	v_cvt_f32_u32_e32 v1, s18
	s_sub_co_i32 s5, 0, s18
	s_mov_b32 s25, s17
	s_delay_alu instid0(VALU_DEP_1) | instskip(NEXT) | instid1(TRANS32_DEP_1)
	v_rcp_iflag_f32_e32 v1, v1
	v_mul_f32_e32 v1, 0x4f7ffffe, v1
	s_delay_alu instid0(VALU_DEP_1) | instskip(NEXT) | instid1(VALU_DEP_1)
	v_cvt_u32_f32_e32 v1, v1
	v_readfirstlane_b32 s4, v1
	s_wait_alu 0xfffe
	s_delay_alu instid0(VALU_DEP_1)
	s_mul_i32 s5, s5, s4
	s_wait_alu 0xfffe
	s_mul_hi_u32 s5, s4, s5
	s_wait_alu 0xfffe
	s_add_co_i32 s4, s4, s5
	s_wait_alu 0xfffe
	s_mul_hi_u32 s4, s16, s4
	s_wait_alu 0xfffe
	s_mul_i32 s5, s4, s18
	s_add_co_i32 s12, s4, 1
	s_wait_alu 0xfffe
	s_sub_co_i32 s5, s16, s5
	s_wait_alu 0xfffe
	s_sub_co_i32 s13, s5, s18
	s_cmp_ge_u32 s5, s18
	s_cselect_b32 s4, s12, s4
	s_wait_alu 0xfffe
	s_cselect_b32 s5, s13, s5
	s_add_co_i32 s12, s4, 1
	s_wait_alu 0xfffe
	s_cmp_ge_u32 s5, s18
	s_cselect_b32 s24, s12, s4
.LBB0_4:
	s_load_b128 s[20:23], s[10:11], 0x0
	s_load_b128 s[12:15], s[2:3], 0x0
	s_load_b64 s[26:27], s[0:1], 0x0
	v_cmp_lt_u64_e64 s33, s[6:7], 3
	s_mul_u64 s[4:5], s[24:25], s[18:19]
	s_wait_alu 0xfffe
	s_sub_nc_u64 s[4:5], s[16:17], s[4:5]
	s_wait_alu 0xfffe
	s_mul_u64 s[30:31], s[4:5], 10
	s_and_b32 vcc_lo, exec_lo, s33
	s_wait_kmcnt 0x0
	s_mul_u64 s[34:35], s[22:23], s[30:31]
	s_mul_u64 s[4:5], s[14:15], s[30:31]
	s_cbranch_vccnz .LBB0_14
; %bb.5:
	s_add_nc_u64 s[36:37], s[2:3], 16
	s_add_nc_u64 s[38:39], s[10:11], 16
	s_add_nc_u64 s[8:9], s[8:9], 16
	s_mov_b64 s[40:41], 2
	s_mov_b32 s42, 0
.LBB0_6:                                ; =>This Inner Loop Header: Depth=1
	s_load_b64 s[44:45], s[8:9], 0x0
                                        ; implicit-def: $sgpr48_sgpr49
	s_wait_kmcnt 0x0
	s_or_b64 s[46:47], s[24:25], s[44:45]
	s_delay_alu instid0(SALU_CYCLE_1)
	s_mov_b32 s43, s47
	s_mov_b32 s47, -1
	s_cmp_lg_u64 s[42:43], 0
	s_cbranch_scc0 .LBB0_8
; %bb.7:                                ;   in Loop: Header=BB0_6 Depth=1
	s_cvt_f32_u32 s33, s44
	s_cvt_f32_u32 s43, s45
	s_sub_nc_u64 s[50:51], 0, s[44:45]
	s_mov_b32 s47, 0
	s_mov_b32 s55, s42
	s_wait_alu 0xfffe
	s_fmamk_f32 s33, s43, 0x4f800000, s33
	s_wait_alu 0xfffe
	s_delay_alu instid0(SALU_CYCLE_2) | instskip(NEXT) | instid1(TRANS32_DEP_1)
	v_s_rcp_f32 s33, s33
	s_mul_f32 s33, s33, 0x5f7ffffc
	s_wait_alu 0xfffe
	s_delay_alu instid0(SALU_CYCLE_2) | instskip(NEXT) | instid1(SALU_CYCLE_3)
	s_mul_f32 s43, s33, 0x2f800000
	s_trunc_f32 s43, s43
	s_delay_alu instid0(SALU_CYCLE_3) | instskip(SKIP_2) | instid1(SALU_CYCLE_1)
	s_fmamk_f32 s33, s43, 0xcf800000, s33
	s_cvt_u32_f32 s49, s43
	s_wait_alu 0xfffe
	s_cvt_u32_f32 s48, s33
	s_wait_alu 0xfffe
	s_delay_alu instid0(SALU_CYCLE_2)
	s_mul_u64 s[52:53], s[50:51], s[48:49]
	s_wait_alu 0xfffe
	s_mul_hi_u32 s57, s48, s53
	s_mul_i32 s56, s48, s53
	s_mul_hi_u32 s46, s48, s52
	s_mul_i32 s43, s49, s52
	s_add_nc_u64 s[56:57], s[46:47], s[56:57]
	s_mul_hi_u32 s33, s49, s52
	s_mul_hi_u32 s58, s49, s53
	s_add_co_u32 s43, s56, s43
	s_wait_alu 0xfffe
	s_add_co_ci_u32 s54, s57, s33
	s_mul_i32 s52, s49, s53
	s_add_co_ci_u32 s53, s58, 0
	s_wait_alu 0xfffe
	s_add_nc_u64 s[52:53], s[54:55], s[52:53]
	s_wait_alu 0xfffe
	v_add_co_u32 v1, s33, s48, s52
	s_delay_alu instid0(VALU_DEP_1) | instskip(SKIP_1) | instid1(VALU_DEP_1)
	s_cmp_lg_u32 s33, 0
	s_add_co_ci_u32 s49, s49, s53
	v_readfirstlane_b32 s48, v1
	s_mov_b32 s53, s42
	s_wait_alu 0xfffe
	s_delay_alu instid0(VALU_DEP_1)
	s_mul_u64 s[50:51], s[50:51], s[48:49]
	s_wait_alu 0xfffe
	s_mul_hi_u32 s55, s48, s51
	s_mul_i32 s54, s48, s51
	s_mul_hi_u32 s46, s48, s50
	s_mul_i32 s43, s49, s50
	s_add_nc_u64 s[54:55], s[46:47], s[54:55]
	s_mul_hi_u32 s33, s49, s50
	s_mul_hi_u32 s48, s49, s51
	s_add_co_u32 s43, s54, s43
	s_wait_alu 0xfffe
	s_add_co_ci_u32 s52, s55, s33
	s_mul_i32 s50, s49, s51
	s_add_co_ci_u32 s51, s48, 0
	s_wait_alu 0xfffe
	s_add_nc_u64 s[50:51], s[52:53], s[50:51]
	s_wait_alu 0xfffe
	v_add_co_u32 v1, s33, v1, s50
	s_delay_alu instid0(VALU_DEP_1) | instskip(SKIP_1) | instid1(VALU_DEP_1)
	s_cmp_lg_u32 s33, 0
	s_add_co_ci_u32 s33, s49, s51
	v_readfirstlane_b32 s43, v1
	s_wait_alu 0xfffe
	s_mul_hi_u32 s49, s24, s33
	s_mul_i32 s48, s24, s33
	s_mul_hi_u32 s51, s25, s33
	s_mul_i32 s50, s25, s33
	;; [unrolled: 2-line block ×3, first 2 shown]
	s_wait_alu 0xfffe
	s_add_nc_u64 s[48:49], s[46:47], s[48:49]
	s_mul_hi_u32 s43, s25, s43
	s_wait_alu 0xfffe
	s_add_co_u32 s33, s48, s33
	s_add_co_ci_u32 s52, s49, s43
	s_add_co_ci_u32 s51, s51, 0
	s_wait_alu 0xfffe
	s_add_nc_u64 s[48:49], s[52:53], s[50:51]
	s_wait_alu 0xfffe
	s_mul_u64 s[50:51], s[44:45], s[48:49]
	s_add_nc_u64 s[52:53], s[48:49], 1
	s_wait_alu 0xfffe
	v_sub_co_u32 v1, s33, s24, s50
	s_sub_co_i32 s43, s25, s51
	s_cmp_lg_u32 s33, 0
	s_add_nc_u64 s[54:55], s[48:49], 2
	s_delay_alu instid0(VALU_DEP_1) | instskip(SKIP_2) | instid1(VALU_DEP_1)
	v_sub_co_u32 v2, s46, v1, s44
	s_sub_co_ci_u32 s43, s43, s45
	s_cmp_lg_u32 s46, 0
	v_readfirstlane_b32 s46, v2
	s_sub_co_ci_u32 s43, s43, 0
	s_delay_alu instid0(SALU_CYCLE_1) | instskip(SKIP_1) | instid1(VALU_DEP_1)
	s_cmp_ge_u32 s43, s45
	s_cselect_b32 s50, -1, 0
	s_cmp_ge_u32 s46, s44
	s_cselect_b32 s46, -1, 0
	s_cmp_eq_u32 s43, s45
	s_wait_alu 0xfffe
	s_cselect_b32 s43, s46, s50
	s_delay_alu instid0(SALU_CYCLE_1)
	s_cmp_lg_u32 s43, 0
	s_cselect_b32 s43, s54, s52
	s_cselect_b32 s46, s55, s53
	s_cmp_lg_u32 s33, 0
	v_readfirstlane_b32 s33, v1
	s_sub_co_ci_u32 s50, s25, s51
	s_wait_alu 0xfffe
	s_cmp_ge_u32 s50, s45
	s_cselect_b32 s51, -1, 0
	s_cmp_ge_u32 s33, s44
	s_cselect_b32 s33, -1, 0
	s_cmp_eq_u32 s50, s45
	s_wait_alu 0xfffe
	s_cselect_b32 s33, s33, s51
	s_wait_alu 0xfffe
	s_cmp_lg_u32 s33, 0
	s_cselect_b32 s49, s46, s49
	s_cselect_b32 s48, s43, s48
.LBB0_8:                                ;   in Loop: Header=BB0_6 Depth=1
	s_and_not1_b32 vcc_lo, exec_lo, s47
	s_cbranch_vccnz .LBB0_10
; %bb.9:                                ;   in Loop: Header=BB0_6 Depth=1
	v_cvt_f32_u32_e32 v1, s44
	s_sub_co_i32 s43, 0, s44
	s_mov_b32 s49, s42
	s_delay_alu instid0(VALU_DEP_1) | instskip(NEXT) | instid1(TRANS32_DEP_1)
	v_rcp_iflag_f32_e32 v1, v1
	v_mul_f32_e32 v1, 0x4f7ffffe, v1
	s_delay_alu instid0(VALU_DEP_1) | instskip(NEXT) | instid1(VALU_DEP_1)
	v_cvt_u32_f32_e32 v1, v1
	v_readfirstlane_b32 s33, v1
	s_delay_alu instid0(VALU_DEP_1) | instskip(NEXT) | instid1(SALU_CYCLE_1)
	s_mul_i32 s43, s43, s33
	s_mul_hi_u32 s43, s33, s43
	s_delay_alu instid0(SALU_CYCLE_1)
	s_add_co_i32 s33, s33, s43
	s_wait_alu 0xfffe
	s_mul_hi_u32 s33, s24, s33
	s_wait_alu 0xfffe
	s_mul_i32 s43, s33, s44
	s_add_co_i32 s46, s33, 1
	s_sub_co_i32 s43, s24, s43
	s_delay_alu instid0(SALU_CYCLE_1)
	s_sub_co_i32 s47, s43, s44
	s_cmp_ge_u32 s43, s44
	s_cselect_b32 s33, s46, s33
	s_cselect_b32 s43, s47, s43
	s_wait_alu 0xfffe
	s_add_co_i32 s46, s33, 1
	s_cmp_ge_u32 s43, s44
	s_cselect_b32 s48, s46, s33
.LBB0_10:                               ;   in Loop: Header=BB0_6 Depth=1
	s_load_b64 s[46:47], s[38:39], 0x0
	s_load_b64 s[50:51], s[36:37], 0x0
	s_add_nc_u64 s[40:41], s[40:41], 1
	s_mul_u64 s[18:19], s[44:45], s[18:19]
	s_wait_alu 0xfffe
	v_cmp_ge_u64_e64 s33, s[40:41], s[6:7]
	s_mul_u64 s[44:45], s[48:49], s[44:45]
	s_add_nc_u64 s[36:37], s[36:37], 8
	s_wait_alu 0xfffe
	s_sub_nc_u64 s[24:25], s[24:25], s[44:45]
	s_add_nc_u64 s[38:39], s[38:39], 8
	s_add_nc_u64 s[8:9], s[8:9], 8
	s_and_b32 vcc_lo, exec_lo, s33
	s_wait_kmcnt 0x0
	s_wait_alu 0xfffe
	s_mul_u64 s[44:45], s[46:47], s[24:25]
	s_mul_u64 s[24:25], s[50:51], s[24:25]
	s_wait_alu 0xfffe
	s_add_nc_u64 s[34:35], s[44:45], s[34:35]
	s_add_nc_u64 s[4:5], s[24:25], s[4:5]
	s_cbranch_vccnz .LBB0_12
; %bb.11:                               ;   in Loop: Header=BB0_6 Depth=1
	s_mov_b64 s[24:25], s[48:49]
	s_branch .LBB0_6
.LBB0_12:
	v_cmp_lt_u64_e64 s8, s[16:17], s[18:19]
	s_mov_b64 s[24:25], 0
	s_delay_alu instid0(VALU_DEP_1)
	s_and_b32 vcc_lo, exec_lo, s8
	s_cbranch_vccnz .LBB0_14
; %bb.13:
	v_cvt_f32_u32_e32 v1, s18
	s_sub_co_i32 s9, 0, s18
	s_mov_b32 s25, 0
	s_delay_alu instid0(VALU_DEP_1) | instskip(NEXT) | instid1(TRANS32_DEP_1)
	v_rcp_iflag_f32_e32 v1, v1
	v_mul_f32_e32 v1, 0x4f7ffffe, v1
	s_delay_alu instid0(VALU_DEP_1) | instskip(NEXT) | instid1(VALU_DEP_1)
	v_cvt_u32_f32_e32 v1, v1
	v_readfirstlane_b32 s8, v1
	s_delay_alu instid0(VALU_DEP_1) | instskip(NEXT) | instid1(SALU_CYCLE_1)
	s_mul_i32 s9, s9, s8
	s_mul_hi_u32 s9, s8, s9
	s_delay_alu instid0(SALU_CYCLE_1) | instskip(NEXT) | instid1(SALU_CYCLE_1)
	s_add_co_i32 s8, s8, s9
	s_mul_hi_u32 s8, s16, s8
	s_delay_alu instid0(SALU_CYCLE_1) | instskip(NEXT) | instid1(SALU_CYCLE_1)
	s_mul_i32 s9, s8, s18
	s_sub_co_i32 s9, s16, s9
	s_add_co_i32 s16, s8, 1
	s_sub_co_i32 s17, s9, s18
	s_cmp_ge_u32 s9, s18
	s_wait_alu 0xfffe
	s_cselect_b32 s8, s16, s8
	s_cselect_b32 s9, s17, s9
	s_add_co_i32 s16, s8, 1
	s_cmp_ge_u32 s9, s18
	s_wait_alu 0xfffe
	s_cselect_b32 s24, s16, s8
.LBB0_14:
	s_lshl_b64 s[6:7], s[6:7], 3
	s_load_b128 s[16:19], s[0:1], 0x60
	s_add_nc_u64 s[0:1], s[10:11], s[6:7]
	v_mul_hi_u32 v9, 0x1999999a, v0
	s_load_b64 s[8:9], s[0:1], 0x0
	s_add_nc_u64 s[10:11], s[30:31], 10
	v_cmp_gt_u32_e64 s0, 0xf0, v0
	v_cmp_le_u64_e64 s10, s[10:11], s[28:29]
                                        ; implicit-def: $vgpr12
                                        ; implicit-def: $vgpr16
                                        ; implicit-def: $vgpr14
                                        ; implicit-def: $vgpr18
                                        ; implicit-def: $vgpr13
                                        ; implicit-def: $vgpr17
                                        ; implicit-def: $vgpr15
                                        ; implicit-def: $vgpr19
	s_delay_alu instid0(VALU_DEP_3)
	v_mul_u32_u24_e32 v1, 10, v9
	v_add_nc_u32_e32 v11, 24, v9
	v_add_nc_u32_e32 v10, 48, v9
	;; [unrolled: 1-line block ×3, first 2 shown]
	v_or_b32_e32 v6, 0x60, v9
	v_add_nc_u32_e32 v5, 0x78, v9
	v_add_nc_u32_e32 v4, 0x90, v9
	;; [unrolled: 1-line block ×3, first 2 shown]
	v_sub_nc_u32_e32 v8, v0, v1
	s_and_b32 s11, s0, s10
	s_wait_kmcnt 0x0
	s_mul_u64 s[8:9], s[8:9], s[24:25]
	s_delay_alu instid0(SALU_CYCLE_1)
	s_add_nc_u64 s[8:9], s[8:9], s[34:35]
	s_wait_alu 0xfffe
	s_and_saveexec_b32 s1, s11
	s_cbranch_execz .LBB0_16
; %bb.15:
	v_mad_co_u64_u32 v[1:2], null, s22, v8, 0
	v_mad_co_u64_u32 v[14:15], null, s20, v11, 0
	;; [unrolled: 1-line block ×3, first 2 shown]
	s_lshl_b64 s[34:35], s[8:9], 2
	v_mad_co_u64_u32 v[23:24], null, s20, v5, 0
	s_delay_alu instid0(VALU_DEP_4)
	v_mad_co_u64_u32 v[16:17], null, s23, v8, v[2:3]
	v_mad_co_u64_u32 v[17:18], null, s20, v10, 0
	v_mov_b32_e32 v2, v15
	v_mad_co_u64_u32 v[19:20], null, s21, v9, v[13:14]
	s_add_nc_u64 s[34:35], s[16:17], s[34:35]
	v_mad_co_u64_u32 v[25:26], null, s20, v4, 0
	s_delay_alu instid0(VALU_DEP_4) | instskip(SKIP_1) | instid1(VALU_DEP_4)
	v_mov_b32_e32 v15, v18
	v_mad_co_u64_u32 v[20:21], null, s21, v11, v[2:3]
	v_dual_mov_b32 v2, v16 :: v_dual_mov_b32 v13, v19
	v_mad_co_u64_u32 v[21:22], null, s20, v7, 0
	s_delay_alu instid0(VALU_DEP_4) | instskip(NEXT) | instid1(VALU_DEP_3)
	v_mad_co_u64_u32 v[18:19], null, s21, v10, v[15:16]
	v_lshlrev_b64_e32 v[1:2], 2, v[1:2]
	v_mov_b32_e32 v15, v20
	v_lshlrev_b64_e32 v[12:13], 2, v[12:13]
	s_delay_alu instid0(VALU_DEP_3) | instskip(NEXT) | instid1(VALU_DEP_4)
	v_add_co_u32 v32, vcc_lo, s34, v1
	v_add_co_ci_u32_e32 v33, vcc_lo, s35, v2, vcc_lo
	s_delay_alu instid0(VALU_DEP_4)
	v_lshlrev_b64_e32 v[1:2], 2, v[14:15]
	v_mov_b32_e32 v14, v22
	v_mad_co_u64_u32 v[15:16], null, s20, v6, 0
	v_add_co_u32 v12, vcc_lo, v32, v12
	s_wait_alu 0xfffd
	v_add_co_ci_u32_e32 v13, vcc_lo, v33, v13, vcc_lo
	v_add_co_u32 v1, vcc_lo, v32, v1
	s_delay_alu instid0(VALU_DEP_4)
	v_mad_co_u64_u32 v[19:20], null, s21, v7, v[14:15]
	v_mov_b32_e32 v14, v16
	v_lshlrev_b64_e32 v[16:17], 2, v[17:18]
	v_mov_b32_e32 v18, v24
	s_wait_alu 0xfffd
	v_add_co_ci_u32_e32 v2, vcc_lo, v33, v2, vcc_lo
	v_mov_b32_e32 v22, v19
	v_mad_co_u64_u32 v[19:20], null, s21, v6, v[14:15]
	v_add_co_u32 v30, vcc_lo, v32, v16
	v_mov_b32_e32 v14, v26
	s_wait_alu 0xfffd
	v_add_co_ci_u32_e32 v31, vcc_lo, v33, v17, vcc_lo
	s_delay_alu instid0(VALU_DEP_4)
	v_mad_co_u64_u32 v[27:28], null, s21, v5, v[18:19]
	v_mad_co_u64_u32 v[28:29], null, s20, v3, 0
	v_mov_b32_e32 v16, v19
	v_mad_co_u64_u32 v[19:20], null, s21, v4, v[14:15]
	v_lshlrev_b64_e32 v[17:18], 2, v[21:22]
	v_mov_b32_e32 v24, v27
	s_delay_alu instid0(VALU_DEP_4) | instskip(SKIP_1) | instid1(VALU_DEP_4)
	v_lshlrev_b64_e32 v[15:16], 2, v[15:16]
	v_mov_b32_e32 v14, v29
	v_add_co_u32 v17, vcc_lo, v32, v17
	s_delay_alu instid0(VALU_DEP_2)
	v_mad_co_u64_u32 v[20:21], null, s21, v3, v[14:15]
	v_lshlrev_b64_e32 v[21:22], 2, v[23:24]
	v_mov_b32_e32 v26, v19
	s_wait_alu 0xfffd
	v_add_co_ci_u32_e32 v18, vcc_lo, v33, v18, vcc_lo
	v_add_co_u32 v23, vcc_lo, v32, v15
	v_mov_b32_e32 v29, v20
	s_wait_alu 0xfffd
	v_add_co_ci_u32_e32 v24, vcc_lo, v33, v16, vcc_lo
	v_lshlrev_b64_e32 v[14:15], 2, v[25:26]
	v_add_co_u32 v19, vcc_lo, v32, v21
	s_wait_alu 0xfffd
	v_add_co_ci_u32_e32 v20, vcc_lo, v33, v22, vcc_lo
	v_lshlrev_b64_e32 v[21:22], 2, v[28:29]
	s_delay_alu instid0(VALU_DEP_4) | instskip(SKIP_2) | instid1(VALU_DEP_3)
	v_add_co_u32 v25, vcc_lo, v32, v14
	s_wait_alu 0xfffd
	v_add_co_ci_u32_e32 v26, vcc_lo, v33, v15, vcc_lo
	v_add_co_u32 v21, vcc_lo, v32, v21
	s_wait_alu 0xfffd
	v_add_co_ci_u32_e32 v22, vcc_lo, v33, v22, vcc_lo
	s_clause 0x7
	global_load_b32 v12, v[12:13], off
	global_load_b32 v13, v[1:2], off
	;; [unrolled: 1-line block ×8, first 2 shown]
.LBB0_16:
	s_or_b32 exec_lo, exec_lo, s1
	v_add_co_u32 v1, s1, s30, v8
	s_delay_alu instid0(VALU_DEP_1) | instskip(SKIP_1) | instid1(VALU_DEP_1)
	v_add_co_ci_u32_e64 v2, null, s31, 0, s1
	s_xor_b32 s1, s10, -1
	v_cmp_gt_u64_e32 vcc_lo, s[28:29], v[1:2]
	s_and_b32 s11, s0, vcc_lo
	s_wait_alu 0xfffe
	s_and_b32 s1, s1, s11
	s_wait_alu 0xfffe
	s_and_saveexec_b32 s11, s1
	s_cbranch_execz .LBB0_18
; %bb.17:
	s_wait_loadcnt 0x6
	v_mad_co_u64_u32 v[12:13], null, s22, v8, 0
	s_wait_loadcnt 0x4
	v_mad_co_u64_u32 v[14:15], null, s20, v9, 0
	;; [unrolled: 2-line block ×3, first 2 shown]
	s_lshl_b64 s[8:9], s[8:9], 2
	s_delay_alu instid0(SALU_CYCLE_1) | instskip(NEXT) | instid1(VALU_DEP_2)
	s_add_nc_u64 s[8:9], s[16:17], s[8:9]
	v_dual_mov_b32 v2, v13 :: v_dual_mov_b32 v13, v15
	s_wait_loadcnt 0x0
	s_delay_alu instid0(VALU_DEP_1) | instskip(SKIP_1) | instid1(VALU_DEP_3)
	v_mad_co_u64_u32 v[18:19], null, s23, v8, v[2:3]
	v_mad_co_u64_u32 v[19:20], null, s20, v10, 0
	v_mad_co_u64_u32 v[21:22], null, s21, v9, v[13:14]
	s_delay_alu instid0(VALU_DEP_3) | instskip(NEXT) | instid1(VALU_DEP_1)
	v_dual_mov_b32 v2, v17 :: v_dual_mov_b32 v13, v18
	v_mad_co_u64_u32 v[22:23], null, s21, v11, v[2:3]
	v_mad_co_u64_u32 v[23:24], null, s20, v7, 0
	s_delay_alu instid0(VALU_DEP_4) | instskip(NEXT) | instid1(VALU_DEP_4)
	v_dual_mov_b32 v2, v20 :: v_dual_mov_b32 v15, v21
	v_lshlrev_b64_e32 v[11:12], 2, v[12:13]
	s_delay_alu instid0(VALU_DEP_4) | instskip(NEXT) | instid1(VALU_DEP_3)
	v_mov_b32_e32 v17, v22
	v_mad_co_u64_u32 v[20:21], null, s21, v10, v[2:3]
	v_mov_b32_e32 v2, v24
	v_lshlrev_b64_e32 v[13:14], 2, v[14:15]
	v_add_co_u32 v28, s1, s8, v11
	s_wait_alu 0xf1ff
	v_add_co_ci_u32_e64 v29, s1, s9, v12, s1
	v_lshlrev_b64_e32 v[10:11], 2, v[16:17]
	s_delay_alu instid0(VALU_DEP_3)
	v_add_co_u32 v12, s1, v28, v13
	v_mad_co_u64_u32 v[16:17], null, s21, v7, v[2:3]
	s_wait_alu 0xf1ff
	v_add_co_ci_u32_e64 v13, s1, v29, v14, s1
	v_mad_co_u64_u32 v[14:15], null, s20, v6, 0
	v_mad_co_u64_u32 v[17:18], null, s20, v5, 0
	;; [unrolled: 1-line block ×3, first 2 shown]
	v_mov_b32_e32 v24, v16
	v_lshlrev_b64_e32 v[19:20], 2, v[19:20]
	v_mov_b32_e32 v2, v15
	v_add_co_u32 v10, s1, v28, v10
	v_mov_b32_e32 v7, v18
	s_wait_alu 0xf1ff
	v_add_co_ci_u32_e64 v11, s1, v29, v11, s1
	v_mad_co_u64_u32 v[15:16], null, s21, v6, v[2:3]
	s_delay_alu instid0(VALU_DEP_3)
	v_mad_co_u64_u32 v[5:6], null, s21, v5, v[7:8]
	v_mad_co_u64_u32 v[6:7], null, s20, v3, 0
	v_mov_b32_e32 v2, v22
	v_add_co_u32 v19, s1, v28, v19
	v_lshlrev_b64_e32 v[14:15], 2, v[14:15]
	v_mov_b32_e32 v18, v5
	s_delay_alu instid0(VALU_DEP_4) | instskip(SKIP_4) | instid1(VALU_DEP_3)
	v_mad_co_u64_u32 v[4:5], null, s21, v4, v[2:3]
	v_mov_b32_e32 v2, v7
	s_wait_alu 0xf1ff
	v_add_co_ci_u32_e64 v20, s1, v29, v20, s1
	v_lshlrev_b64_e32 v[16:17], 2, v[17:18]
	v_mad_co_u64_u32 v[2:3], null, s21, v3, v[2:3]
	s_delay_alu instid0(VALU_DEP_1) | instskip(SKIP_1) | instid1(VALU_DEP_2)
	v_mov_b32_e32 v7, v2
	v_lshlrev_b64_e32 v[22:23], 2, v[23:24]
	v_lshlrev_b64_e32 v[5:6], 2, v[6:7]
	s_delay_alu instid0(VALU_DEP_2) | instskip(SKIP_2) | instid1(VALU_DEP_4)
	v_add_co_u32 v24, s1, v28, v22
	v_mov_b32_e32 v22, v4
	s_wait_alu 0xf1ff
	v_add_co_ci_u32_e64 v25, s1, v29, v23, s1
	v_add_co_u32 v3, s1, v28, v14
	s_wait_alu 0xf1ff
	v_add_co_ci_u32_e64 v4, s1, v29, v15, s1
	v_lshlrev_b64_e32 v[14:15], 2, v[21:22]
	v_add_co_u32 v21, s1, v28, v16
	s_wait_alu 0xf1ff
	v_add_co_ci_u32_e64 v22, s1, v29, v17, s1
	s_delay_alu instid0(VALU_DEP_3)
	v_add_co_u32 v26, s1, v28, v14
	s_wait_alu 0xf1ff
	v_add_co_ci_u32_e64 v27, s1, v29, v15, s1
	v_add_co_u32 v5, s1, v28, v5
	s_wait_alu 0xf1ff
	v_add_co_ci_u32_e64 v6, s1, v29, v6, s1
	s_clause 0x7
	global_load_b32 v12, v[12:13], off
	global_load_b32 v13, v[10:11], off
	global_load_b32 v14, v[19:20], off
	global_load_b32 v15, v[24:25], off
	global_load_b32 v16, v[3:4], off
	global_load_b32 v17, v[21:22], off
	global_load_b32 v18, v[26:27], off
	global_load_b32 v19, v[5:6], off
.LBB0_18:
	s_wait_alu 0xfffe
	s_or_b32 exec_lo, exec_lo, s11
	s_wait_loadcnt 0x3
	v_pk_add_f16 v2, v12, v16 neg_lo:[0,1] neg_hi:[0,1]
	s_wait_loadcnt 0x1
	v_pk_add_f16 v3, v14, v18 neg_lo:[0,1] neg_hi:[0,1]
	v_pk_add_f16 v4, v13, v17 neg_lo:[0,1] neg_hi:[0,1]
	s_wait_loadcnt 0x0
	v_pk_add_f16 v5, v15, v19 neg_lo:[0,1] neg_hi:[0,1]
	v_pk_fma_f16 v12, v12, 2.0, v2 op_sel_hi:[1,0,1] neg_lo:[0,0,1] neg_hi:[0,0,1]
	v_pk_add_f16 v6, v2, v3 op_sel:[0,1] op_sel_hi:[1,0] neg_lo:[0,1] neg_hi:[0,1]
	v_pk_add_f16 v11, v2, v3 op_sel:[0,1] op_sel_hi:[1,0]
	s_delay_alu instid0(VALU_DEP_4) | instskip(SKIP_3) | instid1(VALU_DEP_3)
	v_pk_add_f16 v7, v4, v5 op_sel:[0,1] op_sel_hi:[1,0] neg_lo:[0,1] neg_hi:[0,1]
	v_pk_add_f16 v10, v4, v5 op_sel:[0,1] op_sel_hi:[1,0]
	v_pk_fma_f16 v3, v14, 2.0, v3 op_sel_hi:[1,0,1] neg_lo:[0,0,1] neg_hi:[0,0,1]
	v_pk_fma_f16 v5, v15, 2.0, v5 op_sel_hi:[1,0,1] neg_lo:[0,0,1] neg_hi:[0,0,1]
	v_bfi_b32 v7, 0xffff, v7, v10
	v_bfi_b32 v10, 0xffff, v6, v11
	v_pk_fma_f16 v6, v13, 2.0, v4 op_sel_hi:[1,0,1] neg_lo:[0,0,1] neg_hi:[0,0,1]
	v_pk_add_f16 v17, v12, v3 neg_lo:[0,1] neg_hi:[0,1]
	s_delay_alu instid0(VALU_DEP_4) | instskip(NEXT) | instid1(VALU_DEP_4)
	v_pk_fma_f16 v4, v4, 2.0, v7 op_sel_hi:[1,0,1] neg_lo:[0,0,1] neg_hi:[0,0,1]
	v_pk_fma_f16 v2, v2, 2.0, v10 op_sel_hi:[1,0,1] neg_lo:[0,0,1] neg_hi:[0,0,1]
	s_delay_alu instid0(VALU_DEP_4) | instskip(NEXT) | instid1(VALU_DEP_4)
	v_pk_add_f16 v3, v6, v5 neg_lo:[0,1] neg_hi:[0,1]
	v_pk_fma_f16 v12, v12, 2.0, v17 op_sel_hi:[1,0,1] neg_lo:[0,0,1] neg_hi:[0,0,1]
	v_pk_mul_f16 v13, 0x39a8, v7 op_sel_hi:[0,1]
	v_pk_mul_f16 v11, 0x39a8, v4 op_sel_hi:[0,1]
	v_pk_fma_f16 v4, 0x39a8, v4, v2 op_sel_hi:[0,1,1] neg_lo:[0,1,0] neg_hi:[0,1,0]
	v_pk_fma_f16 v6, v6, 2.0, v3 op_sel_hi:[1,0,1] neg_lo:[0,0,1] neg_hi:[0,0,1]
	v_pk_fma_f16 v7, 0x39a8, v7, v10 op_sel_hi:[0,1,1]
	v_lshrrev_b32_e32 v18, 16, v12
	s_delay_alu instid0(VALU_DEP_4)
	v_pk_add_f16 v5, v4, v11 op_sel:[0,1] op_sel_hi:[1,0] neg_lo:[0,1] neg_hi:[0,1]
	v_pk_add_f16 v11, v4, v11 op_sel:[0,1] op_sel_hi:[1,0]
	v_pk_add_f16 v4, v12, v6 neg_lo:[0,1] neg_hi:[0,1]
	v_pk_add_f16 v6, v17, v3 op_sel:[0,1] op_sel_hi:[1,0] neg_lo:[0,1] neg_hi:[0,1]
	v_pk_add_f16 v3, v17, v3 op_sel:[0,1] op_sel_hi:[1,0]
	v_pk_add_f16 v16, v7, v13 op_sel:[0,1] op_sel_hi:[1,0] neg_lo:[0,1] neg_hi:[0,1]
	v_pk_add_f16 v7, v7, v13 op_sel:[0,1] op_sel_hi:[1,0]
	v_bfi_b32 v14, 0xffff, v5, v11
	v_lshrrev_b32_e32 v13, 16, v4
	v_bfi_b32 v15, 0xffff, v6, v3
	s_delay_alu instid0(VALU_DEP_4) | instskip(NEXT) | instid1(VALU_DEP_4)
	v_bfi_b32 v16, 0xffff, v16, v7
	v_pk_fma_f16 v3, v2, 2.0, v14 op_sel_hi:[1,0,1] neg_lo:[0,0,1] neg_hi:[0,0,1]
	v_fma_f16 v2, v12, 2.0, -v4
	v_fma_f16 v12, v18, 2.0, -v13
	v_pk_fma_f16 v6, v17, 2.0, v15 op_sel_hi:[1,0,1] neg_lo:[0,0,1] neg_hi:[0,0,1]
	v_pk_fma_f16 v7, v10, 2.0, v16 op_sel_hi:[1,0,1] neg_lo:[0,0,1] neg_hi:[0,0,1]
	v_lshlrev_b32_e32 v10, 2, v8
	s_and_saveexec_b32 s1, s0
	s_cbranch_execz .LBB0_20
; %bb.19:
	v_mul_u32_u24_e32 v17, 0x50, v9
	v_and_b32_e32 v18, 0xffff, v2
	v_lshlrev_b32_e32 v19, 16, v12
	s_delay_alu instid0(VALU_DEP_3) | instskip(NEXT) | instid1(VALU_DEP_2)
	v_lshlrev_b32_e32 v17, 2, v17
	v_or_b32_e32 v18, v19, v18
	s_delay_alu instid0(VALU_DEP_2)
	v_add3_u32 v17, 0, v17, v10
	ds_store_2addr_b32 v17, v18, v3 offset1:10
	ds_store_2addr_b32 v17, v6, v7 offset0:20 offset1:30
	ds_store_2addr_b32 v17, v4, v14 offset0:40 offset1:50
	;; [unrolled: 1-line block ×3, first 2 shown]
.LBB0_20:
	s_wait_alu 0xfffe
	s_or_b32 exec_lo, exec_lo, s1
	v_cmp_gt_u32_e64 s0, 0x140, v0
	v_lshrrev_b32_e32 v14, 16, v3
	v_lshrrev_b32_e32 v17, 16, v11
	;; [unrolled: 1-line block ×4, first 2 shown]
	v_mul_u32_u24_e32 v11, 40, v9
	global_wb scope:SCOPE_SE
	s_wait_dscnt 0x0
	s_barrier_signal -1
	s_barrier_wait -1
	global_inv scope:SCOPE_SE
	s_and_saveexec_b32 s1, s0
	s_cbranch_execz .LBB0_22
; %bb.21:
	v_add3_u32 v4, 0, v11, v10
	ds_load_2addr_stride64_b32 v[2:3], v4 offset1:5
	ds_load_2addr_stride64_b32 v[6:7], v4 offset0:10 offset1:15
	ds_load_2addr_stride64_b32 v[4:5], v4 offset0:20 offset1:25
	s_wait_dscnt 0x2
	v_lshrrev_b32_e32 v14, 16, v3
	s_wait_dscnt 0x1
	v_lshrrev_b32_e32 v16, 16, v6
	v_lshrrev_b32_e32 v15, 16, v7
	s_wait_dscnt 0x0
	v_lshrrev_b32_e32 v13, 16, v4
	v_lshrrev_b32_e32 v17, 16, v5
	;; [unrolled: 1-line block ×3, first 2 shown]
.LBB0_22:
	s_wait_alu 0xfffe
	s_or_b32 exec_lo, exec_lo, s1
	global_wb scope:SCOPE_SE
	s_barrier_signal -1
	s_barrier_wait -1
	global_inv scope:SCOPE_SE
	s_and_saveexec_b32 s1, s0
	s_cbranch_execz .LBB0_24
; %bb.23:
	v_and_b32_e32 v22, 7, v9
	v_lshrrev_b32_e32 v24, 3, v9
	s_delay_alu instid0(VALU_DEP_2) | instskip(NEXT) | instid1(VALU_DEP_2)
	v_mul_u32_u24_e32 v18, 5, v22
	v_mul_u32_u24_e32 v24, 48, v24
	s_delay_alu instid0(VALU_DEP_2) | instskip(NEXT) | instid1(VALU_DEP_2)
	v_lshlrev_b32_e32 v23, 2, v18
	v_or_b32_e32 v22, v24, v22
	s_clause 0x1
	global_load_b128 v[18:21], v23, s[26:27]
	global_load_b32 v23, v23, s[26:27] offset:16
	v_mul_u32_u24_e32 v22, 40, v22
	s_delay_alu instid0(VALU_DEP_1) | instskip(NEXT) | instid1(VALU_DEP_1)
	v_add3_u32 v22, 0, v22, v10
	v_add_nc_u32_e32 v24, 0x400, v22
	s_wait_loadcnt 0x1
	v_lshrrev_b32_e32 v25, 16, v19
	v_lshrrev_b32_e32 v26, 16, v21
	;; [unrolled: 1-line block ×3, first 2 shown]
	s_wait_loadcnt 0x0
	v_lshrrev_b32_e32 v29, 16, v23
	v_lshrrev_b32_e32 v27, 16, v18
	v_mul_f16_e32 v30, v16, v25
	v_mul_f16_e32 v31, v13, v26
	;; [unrolled: 1-line block ×10, first 2 shown]
	v_fmac_f16_e32 v25, v16, v19
	v_fmac_f16_e32 v26, v13, v21
	v_fma_f16 v7, v7, v20, -v33
	v_fma_f16 v5, v5, v23, -v34
	v_fmac_f16_e32 v28, v15, v20
	v_fmac_f16_e32 v29, v17, v23
	v_fma_f16 v3, v3, v18, -v32
	v_fmac_f16_e32 v27, v14, v18
	v_add_f16_e32 v14, v25, v26
	v_add_f16_e32 v15, v7, v5
	;; [unrolled: 1-line block ×3, first 2 shown]
	v_fma_f16 v6, v6, v19, -v30
	v_fma_f16 v4, v4, v21, -v31
	v_sub_f16_e32 v16, v28, v29
	v_sub_f16_e32 v17, v7, v5
	v_add_f16_e32 v19, v12, v25
	v_add_f16_e32 v7, v3, v7
	v_fma_f16 v12, -0.5, v14, v12
	v_fma_f16 v3, -0.5, v15, v3
	;; [unrolled: 1-line block ×3, first 2 shown]
	v_sub_f16_e32 v13, v6, v4
	v_add_f16_e32 v20, v27, v28
	v_add_f16_e32 v21, v6, v4
	;; [unrolled: 1-line block ×5, first 2 shown]
	v_fmamk_f16 v7, v16, 0xbaee, v3
	v_fmamk_f16 v19, v17, 0x3aee, v14
	v_fmac_f16_e32 v14, 0xbaee, v17
	v_fmac_f16_e32 v3, 0x3aee, v16
	v_add_f16_e32 v18, v20, v29
	v_add_f16_e32 v4, v6, v4
	v_sub_f16_e32 v23, v25, v26
	v_fma_f16 v2, -0.5, v21, v2
	v_mul_f16_e32 v20, 0xbaee, v3
	v_mul_f16_e32 v21, 0x3aee, v14
	v_fmamk_f16 v6, v13, 0x3aee, v12
	v_fmac_f16_e32 v12, 0xbaee, v13
	v_sub_f16_e32 v13, v15, v18
	v_sub_f16_e32 v17, v4, v5
	v_add_f16_e32 v15, v15, v18
	v_mul_f16_e32 v18, -0.5, v19
	v_add_f16_e32 v4, v4, v5
	v_mul_f16_e32 v5, -0.5, v7
	v_fmamk_f16 v16, v23, 0xbaee, v2
	v_fmac_f16_e32 v2, 0x3aee, v23
	v_fmac_f16_e32 v20, 0.5, v14
	v_fmac_f16_e32 v21, 0.5, v3
	v_fmac_f16_e32 v18, 0xbaee, v7
	v_fmac_f16_e32 v5, 0x3aee, v19
	v_pack_b32_f16 v4, v4, v15
	v_sub_f16_e32 v7, v12, v20
	v_add_f16_e32 v12, v12, v20
	v_add_f16_e32 v14, v2, v21
	v_sub_f16_e32 v3, v6, v18
	v_add_f16_e32 v6, v6, v18
	v_add_f16_e32 v15, v16, v5
	v_sub_f16_e32 v2, v2, v21
	v_sub_f16_e32 v5, v16, v5
	v_pack_b32_f16 v12, v14, v12
	v_pack_b32_f16 v13, v17, v13
	;; [unrolled: 1-line block ×5, first 2 shown]
	ds_store_2addr_b32 v22, v4, v12 offset1:80
	ds_store_2addr_b32 v22, v6, v13 offset0:160 offset1:240
	ds_store_2addr_b32 v24, v2, v3 offset0:64 offset1:144
.LBB0_24:
	s_wait_alu 0xfffe
	s_or_b32 exec_lo, exec_lo, s1
	s_or_b32 s0, s10, vcc_lo
	global_wb scope:SCOPE_SE
	s_wait_dscnt 0x0
	s_barrier_signal -1
	s_barrier_wait -1
	global_inv scope:SCOPE_SE
	s_wait_alu 0xfffe
	s_and_saveexec_b32 s1, s0
	s_cbranch_execz .LBB0_26
; %bb.25:
	v_mul_hi_u32 v2, 0x5555556, v9
	s_add_nc_u64 s[0:1], s[2:3], s[6:7]
	v_mad_co_u64_u32 v[5:6], null, s14, v8, 0
	s_load_b64 s[0:1], s[0:1], 0x0
	v_add3_u32 v7, 0, v11, v10
	v_mul_hi_u32_u24_e32 v10, 0x888889, v0
	v_mul_lo_u32 v13, 0xffffffd0, v1
	v_mul_u32_u24_e32 v2, 48, v2
	s_lshl_b64 s[2:3], s[4:5], 2
	ds_load_b32 v16, v7
	s_add_co_i32 s6, 0, 0x1e00
	v_sub_nc_u32_e32 v9, v9, v2
	v_mov_b32_e32 v0, v6
	s_delay_alu instid0(VALU_DEP_2) | instskip(NEXT) | instid1(VALU_DEP_1)
	v_mul_u32_u24_e32 v2, 3, v9
	v_lshlrev_b32_e32 v2, 2, v2
	s_wait_kmcnt 0x0
	s_mul_u64 s[0:1], s[0:1], s[24:25]
	s_wait_alu 0xfffe
	s_lshl_b64 s[0:1], s[0:1], 2
	s_wait_alu 0xfffe
	s_add_nc_u64 s[0:1], s[18:19], s[0:1]
	global_load_b96 v[2:4], v2, s[26:27] offset:160
	ds_load_b32 v17, v7 offset:5760
	ds_load_b32 v18, v7 offset:3840
	;; [unrolled: 1-line block ×3, first 2 shown]
	v_mad_co_u64_u32 v[6:7], null, s15, v8, v[0:1]
	v_mul_u32_u24_e32 v0, 0xc0, v10
	v_add_nc_u32_e32 v7, 0x90, v9
	v_mul_lo_u32 v8, v9, v1
	s_wait_alu 0xfffe
	s_add_nc_u64 s[0:1], s[0:1], s[2:3]
	s_wait_dscnt 0x3
	v_lshrrev_b32_e32 v23, 16, v16
	v_or_b32_e32 v14, v0, v9
	v_mul_lo_u32 v15, v7, v1
	v_lshlrev_b64_e32 v[5:6], 2, v[5:6]
	s_delay_alu instid0(VALU_DEP_3) | instskip(SKIP_2) | instid1(VALU_DEP_3)
	v_mad_co_u64_u32 v[0:1], null, s12, v14, 0
	v_add_nc_u32_e32 v22, 0x90, v14
	s_wait_alu 0xfffe
	v_add_co_u32 v33, vcc_lo, s0, v5
	s_wait_alu 0xfffd
	v_add_co_ci_u32_e32 v34, vcc_lo, s1, v6, vcc_lo
	v_add_nc_u32_e32 v21, 0x60, v14
	v_lshrrev_b32_e32 v28, 8, v8
	v_lshrrev_b32_e32 v29, 3, v8
	v_mad_co_u64_u32 v[11:12], null, s12, v22, 0
	v_and_b32_e32 v27, 31, v8
	v_mad_co_u64_u32 v[9:10], null, s12, v21, 0
	v_lshrrev_b32_e32 v30, 8, v15
	v_and_b32_e32 v31, 31, v15
	v_lshrrev_b32_e32 v32, 3, v15
	v_add_nc_u32_e32 v15, v15, v13
	v_and_b32_e32 v28, 0x7c, v28
	v_and_b32_e32 v30, 0x7c, v30
	s_wait_dscnt 0x1
	v_lshrrev_b32_e32 v24, 16, v18
	v_and_b32_e32 v32, 0x7c, v32
	v_add_nc_u32_e32 v13, v15, v13
	v_add_nc_u32_e32 v28, s6, v28
	v_add_nc_u32_e32 v30, s6, v30
	s_wait_dscnt 0x0
	v_lshrrev_b32_e32 v25, 16, v19
	v_add_nc_u32_e32 v32, s6, v32
	v_lshrrev_b32_e32 v39, 8, v13
	v_lshrrev_b32_e32 v40, 3, v13
	;; [unrolled: 1-line block ×3, first 2 shown]
	s_wait_loadcnt 0x0
	v_mad_co_u64_u32 v[5:6], null, s13, v14, v[1:2]
	v_add_nc_u32_e32 v20, 48, v14
	v_mov_b32_e32 v6, v10
	v_and_b32_e32 v10, 31, v13
	s_delay_alu instid0(VALU_DEP_3) | instskip(NEXT) | instid1(VALU_DEP_1)
	v_mad_co_u64_u32 v[7:8], null, s12, v20, 0
	v_dual_mov_b32 v1, v8 :: v_dual_mov_b32 v8, v12
	v_lshl_add_u32 v27, v27, 2, 0
	s_delay_alu instid0(VALU_DEP_2)
	v_mad_co_u64_u32 v[12:13], null, s13, v20, v[1:2]
	v_mov_b32_e32 v1, v5
	v_mad_co_u64_u32 v[13:14], null, s13, v21, v[6:7]
	v_lshl_add_u32 v5, v10, 2, 0
	ds_load_b32 v37, v27 offset:7680
	v_and_b32_e32 v20, 0x7c, v39
	v_and_b32_e32 v21, 0x7c, v40
	v_lshlrev_b64_e32 v[0:1], 2, v[0:1]
	v_mov_b32_e32 v10, v13
	v_lshrrev_b32_e32 v35, 8, v15
	v_and_b32_e32 v36, 31, v15
	v_lshrrev_b32_e32 v15, 3, v15
	v_add_nc_u32_e32 v20, s6, v20
	v_add_nc_u32_e32 v21, s6, v21
	v_and_b32_e32 v35, 0x7c, v35
	v_lshl_add_u32 v36, v36, 2, 0
	v_and_b32_e32 v38, 0x7c, v15
	v_mad_co_u64_u32 v[14:15], null, s13, v22, v[8:9]
	v_mov_b32_e32 v8, v12
	v_lshl_add_u32 v31, v31, 2, 0
	s_delay_alu instid0(VALU_DEP_4)
	v_add_nc_u32_e32 v15, s6, v38
	v_and_b32_e32 v29, 0x7c, v29
	v_add_nc_u32_e32 v6, s6, v35
	v_add_co_u32 v0, vcc_lo, v33, v0
	v_mov_b32_e32 v12, v14
	ds_load_b32 v13, v30 offset:256
	ds_load_u16 v14, v31 offset:7680
	ds_load_b32 v22, v32 offset:128
	ds_load_b32 v30, v5 offset:7680
	ds_load_u16 v31, v5 offset:7682
	ds_load_b32 v32, v6 offset:256
	ds_load_u16 v35, v36 offset:7680
	ds_load_b32 v15, v15 offset:128
	v_add_nc_u32_e32 v29, s6, v29
	v_lshlrev_b64_e32 v[5:6], 2, v[7:8]
	v_lshlrev_b64_e32 v[7:8], 2, v[9:10]
	;; [unrolled: 1-line block ×3, first 2 shown]
	ds_load_u16 v11, v27 offset:7682
	ds_load_b32 v12, v20 offset:256
	ds_load_b32 v20, v21 offset:128
	;; [unrolled: 1-line block ×4, first 2 shown]
	s_wait_dscnt 0xd
	v_lshrrev_b32_e32 v28, 16, v37
	s_wait_alu 0xfffd
	v_add_co_ci_u32_e32 v1, vcc_lo, v34, v1, vcc_lo
	v_add_co_u32 v5, vcc_lo, v33, v5
	s_wait_alu 0xfffd
	v_add_co_ci_u32_e32 v6, vcc_lo, v34, v6, vcc_lo
	s_wait_dscnt 0xc
	v_lshrrev_b32_e32 v40, 16, v13
	v_add_co_u32 v7, vcc_lo, v33, v7
	s_wait_dscnt 0xa
	v_lshrrev_b32_e32 v29, 16, v22
	s_wait_dscnt 0x9
	v_lshrrev_b32_e32 v36, 16, v30
	;; [unrolled: 2-line block ×3, first 2 shown]
	s_wait_alu 0xfffd
	v_add_co_ci_u32_e32 v8, vcc_lo, v34, v8, vcc_lo
	v_mul_f16_e32 v38, v14, v29
	s_wait_dscnt 0x5
	v_lshrrev_b32_e32 v39, 16, v15
	v_mul_f16_e32 v29, v36, v29
	s_wait_dscnt 0x2
	v_lshrrev_b32_e32 v43, 16, v20
	s_wait_dscnt 0x0
	v_lshrrev_b32_e32 v45, 16, v27
	v_fmac_f16_e32 v38, v36, v22
	v_mul_f16_e32 v36, v28, v39
	v_mul_f16_e32 v39, v35, v39
	v_fma_f16 v14, v14, v22, -v29
	v_lshrrev_b32_e32 v42, 16, v12
	v_mul_f16_e32 v22, v38, v40
	v_fma_f16 v29, v35, v15, -v36
	v_fmac_f16_e32 v39, v28, v15
	v_mul_f16_e32 v15, v31, v43
	v_mul_f16_e32 v28, v30, v43
	;; [unrolled: 1-line block ×4, first 2 shown]
	v_fma_f16 v22, v13, v14, -v22
	v_mul_f16_e32 v14, v14, v40
	v_mul_f16_e32 v40, v39, v41
	;; [unrolled: 1-line block ×3, first 2 shown]
	v_fma_f16 v15, v30, v20, -v15
	v_fmac_f16_e32 v28, v31, v20
	v_fma_f16 v20, v37, v27, -v35
	v_fmac_f16_e32 v36, v11, v27
	v_fma_f16 v11, v32, v29, -v40
	v_lshrrev_b32_e32 v27, 16, v3
	v_lshrrev_b32_e32 v29, 16, v2
	;; [unrolled: 1-line block ×3, first 2 shown]
	v_fmac_f16_e32 v14, v13, v38
	v_lshrrev_b32_e32 v44, 16, v21
	v_mul_f16_e32 v35, v27, v18
	v_mul_f16_e32 v37, v29, v25
	;; [unrolled: 1-line block ×6, first 2 shown]
	v_fmac_f16_e32 v35, v3, v24
	v_fma_f16 v19, v2, v19, -v37
	v_fma_f16 v17, v4, v17, -v38
	;; [unrolled: 1-line block ×3, first 2 shown]
	v_fmac_f16_e32 v29, v2, v25
	v_fmac_f16_e32 v30, v4, v26
	;; [unrolled: 1-line block ×3, first 2 shown]
	v_mul_f16_e32 v13, v28, v42
	v_mul_f16_e32 v31, v15, v42
	;; [unrolled: 1-line block ×3, first 2 shown]
	v_sub_f16_e32 v4, v23, v35
	v_sub_f16_e32 v17, v19, v17
	;; [unrolled: 1-line block ×4, first 2 shown]
	v_mul_f16_e32 v2, v20, v44
	v_fma_f16 v13, v12, v15, -v13
	v_fmac_f16_e32 v31, v12, v28
	v_fma_f16 v12, v21, v20, -v32
	v_add_f16_e32 v15, v4, v17
	v_sub_f16_e32 v20, v3, v18
	v_fma_f16 v23, v23, 2.0, -v4
	v_fma_f16 v18, v29, 2.0, -v18
	;; [unrolled: 1-line block ×4, first 2 shown]
	v_mul_f16_e32 v19, v20, v14
	v_fmac_f16_e32 v2, v21, v36
	v_sub_f16_e32 v18, v23, v18
	v_mul_f16_e32 v14, v15, v14
	v_sub_f16_e32 v17, v16, v17
	v_fma_f16 v4, v4, 2.0, -v15
	v_fmac_f16_e32 v19, v15, v22
	v_fma_f16 v21, v23, 2.0, -v18
	v_fma_f16 v3, v3, 2.0, -v20
	v_mul_f16_e32 v15, v17, v41
	v_fma_f16 v16, v16, 2.0, -v17
	v_fma_f16 v14, v20, v22, -v14
	v_mul_f16_e32 v20, v18, v41
	v_mul_f16_e32 v22, v3, v31
	v_fmac_f16_e32 v15, v18, v11
	v_mul_f16_e32 v18, v16, v2
	v_mul_f16_e32 v2, v21, v2
	;; [unrolled: 1-line block ×3, first 2 shown]
	v_fmac_f16_e32 v22, v4, v13
	v_fma_f16 v11, v17, v11, -v20
	v_fmac_f16_e32 v18, v21, v12
	v_fma_f16 v12, v16, v12, -v2
	v_fma_f16 v4, v3, v13, -v23
	v_add_co_u32 v2, vcc_lo, v33, v9
	s_wait_alu 0xfffd
	v_add_co_ci_u32_e32 v3, vcc_lo, v34, v10, vcc_lo
	v_pack_b32_f16 v9, v12, v18
	v_pack_b32_f16 v4, v4, v22
	;; [unrolled: 1-line block ×4, first 2 shown]
	s_clause 0x3
	global_store_b32 v[0:1], v9, off
	global_store_b32 v[5:6], v4, off
	;; [unrolled: 1-line block ×4, first 2 shown]
.LBB0_26:
	s_nop 0
	s_sendmsg sendmsg(MSG_DEALLOC_VGPRS)
	s_endpgm
	.section	.rodata,"a",@progbits
	.p2align	6, 0x0
	.amdhsa_kernel fft_rtc_fwd_len192_factors_8_6_4_wgs_480_tpt_48_half_op_CI_CI_sbcc_twdbase5_3step_dirReg
		.amdhsa_group_segment_fixed_size 0
		.amdhsa_private_segment_fixed_size 0
		.amdhsa_kernarg_size 112
		.amdhsa_user_sgpr_count 2
		.amdhsa_user_sgpr_dispatch_ptr 0
		.amdhsa_user_sgpr_queue_ptr 0
		.amdhsa_user_sgpr_kernarg_segment_ptr 1
		.amdhsa_user_sgpr_dispatch_id 0
		.amdhsa_user_sgpr_private_segment_size 0
		.amdhsa_wavefront_size32 1
		.amdhsa_uses_dynamic_stack 0
		.amdhsa_enable_private_segment 0
		.amdhsa_system_sgpr_workgroup_id_x 1
		.amdhsa_system_sgpr_workgroup_id_y 0
		.amdhsa_system_sgpr_workgroup_id_z 0
		.amdhsa_system_sgpr_workgroup_info 0
		.amdhsa_system_vgpr_workitem_id 0
		.amdhsa_next_free_vgpr 46
		.amdhsa_next_free_sgpr 59
		.amdhsa_reserve_vcc 1
		.amdhsa_float_round_mode_32 0
		.amdhsa_float_round_mode_16_64 0
		.amdhsa_float_denorm_mode_32 3
		.amdhsa_float_denorm_mode_16_64 3
		.amdhsa_fp16_overflow 0
		.amdhsa_workgroup_processor_mode 1
		.amdhsa_memory_ordered 1
		.amdhsa_forward_progress 0
		.amdhsa_round_robin_scheduling 0
		.amdhsa_exception_fp_ieee_invalid_op 0
		.amdhsa_exception_fp_denorm_src 0
		.amdhsa_exception_fp_ieee_div_zero 0
		.amdhsa_exception_fp_ieee_overflow 0
		.amdhsa_exception_fp_ieee_underflow 0
		.amdhsa_exception_fp_ieee_inexact 0
		.amdhsa_exception_int_div_zero 0
	.end_amdhsa_kernel
	.text
.Lfunc_end0:
	.size	fft_rtc_fwd_len192_factors_8_6_4_wgs_480_tpt_48_half_op_CI_CI_sbcc_twdbase5_3step_dirReg, .Lfunc_end0-fft_rtc_fwd_len192_factors_8_6_4_wgs_480_tpt_48_half_op_CI_CI_sbcc_twdbase5_3step_dirReg
                                        ; -- End function
	.section	.AMDGPU.csdata,"",@progbits
; Kernel info:
; codeLenInByte = 5616
; NumSgprs: 61
; NumVgprs: 46
; ScratchSize: 0
; MemoryBound: 0
; FloatMode: 240
; IeeeMode: 1
; LDSByteSize: 0 bytes/workgroup (compile time only)
; SGPRBlocks: 7
; VGPRBlocks: 5
; NumSGPRsForWavesPerEU: 61
; NumVGPRsForWavesPerEU: 46
; Occupancy: 15
; WaveLimiterHint : 1
; COMPUTE_PGM_RSRC2:SCRATCH_EN: 0
; COMPUTE_PGM_RSRC2:USER_SGPR: 2
; COMPUTE_PGM_RSRC2:TRAP_HANDLER: 0
; COMPUTE_PGM_RSRC2:TGID_X_EN: 1
; COMPUTE_PGM_RSRC2:TGID_Y_EN: 0
; COMPUTE_PGM_RSRC2:TGID_Z_EN: 0
; COMPUTE_PGM_RSRC2:TIDIG_COMP_CNT: 0
	.text
	.p2alignl 7, 3214868480
	.fill 96, 4, 3214868480
	.type	__hip_cuid_c7e87c6d8d6c6dfe,@object ; @__hip_cuid_c7e87c6d8d6c6dfe
	.section	.bss,"aw",@nobits
	.globl	__hip_cuid_c7e87c6d8d6c6dfe
__hip_cuid_c7e87c6d8d6c6dfe:
	.byte	0                               ; 0x0
	.size	__hip_cuid_c7e87c6d8d6c6dfe, 1

	.ident	"AMD clang version 19.0.0git (https://github.com/RadeonOpenCompute/llvm-project roc-6.4.0 25133 c7fe45cf4b819c5991fe208aaa96edf142730f1d)"
	.section	".note.GNU-stack","",@progbits
	.addrsig
	.addrsig_sym __hip_cuid_c7e87c6d8d6c6dfe
	.amdgpu_metadata
---
amdhsa.kernels:
  - .args:
      - .actual_access:  read_only
        .address_space:  global
        .offset:         0
        .size:           8
        .value_kind:     global_buffer
      - .address_space:  global
        .offset:         8
        .size:           8
        .value_kind:     global_buffer
      - .offset:         16
        .size:           8
        .value_kind:     by_value
      - .actual_access:  read_only
        .address_space:  global
        .offset:         24
        .size:           8
        .value_kind:     global_buffer
      - .actual_access:  read_only
        .address_space:  global
        .offset:         32
        .size:           8
        .value_kind:     global_buffer
      - .actual_access:  read_only
        .address_space:  global
        .offset:         40
        .size:           8
        .value_kind:     global_buffer
      - .offset:         48
        .size:           8
        .value_kind:     by_value
      - .actual_access:  read_only
        .address_space:  global
        .offset:         56
        .size:           8
        .value_kind:     global_buffer
      - .actual_access:  read_only
        .address_space:  global
        .offset:         64
        .size:           8
        .value_kind:     global_buffer
      - .offset:         72
        .size:           4
        .value_kind:     by_value
      - .actual_access:  read_only
        .address_space:  global
        .offset:         80
        .size:           8
        .value_kind:     global_buffer
      - .actual_access:  read_only
        .address_space:  global
        .offset:         88
        .size:           8
        .value_kind:     global_buffer
      - .actual_access:  read_only
        .address_space:  global
        .offset:         96
        .size:           8
        .value_kind:     global_buffer
      - .actual_access:  write_only
        .address_space:  global
        .offset:         104
        .size:           8
        .value_kind:     global_buffer
    .group_segment_fixed_size: 0
    .kernarg_segment_align: 8
    .kernarg_segment_size: 112
    .language:       OpenCL C
    .language_version:
      - 2
      - 0
    .max_flat_workgroup_size: 480
    .name:           fft_rtc_fwd_len192_factors_8_6_4_wgs_480_tpt_48_half_op_CI_CI_sbcc_twdbase5_3step_dirReg
    .private_segment_fixed_size: 0
    .sgpr_count:     61
    .sgpr_spill_count: 0
    .symbol:         fft_rtc_fwd_len192_factors_8_6_4_wgs_480_tpt_48_half_op_CI_CI_sbcc_twdbase5_3step_dirReg.kd
    .uniform_work_group_size: 1
    .uses_dynamic_stack: false
    .vgpr_count:     46
    .vgpr_spill_count: 0
    .wavefront_size: 32
    .workgroup_processor_mode: 1
amdhsa.target:   amdgcn-amd-amdhsa--gfx1201
amdhsa.version:
  - 1
  - 2
...

	.end_amdgpu_metadata
